;; amdgpu-corpus repo=llvm/llvm-project kind=harvested arch=n/a opt=n/a
// NOTE: Assertions have been autogenerated by utils/update_mc_test_checks.py UTC_ARGS: --unique --version 5
// RUN: llvm-mc -triple=amdgcn -mcpu=gfx1100 -mattr=-real-true16 -show-encoding %s | FileCheck %s
// RUN: llvm-mc -triple=amdgcn -mcpu=gfx1200 -mattr=-real-true16 -show-encoding %s | FileCheck %s

v_dot2_bf16_bf16 v5, v1, v2, 100.0
// CHECK: v_dot2_bf16_bf16 v5, v1, v2, 0x42c8     ; encoding: [0x05,0x00,0x67,0xd6,0x01,0x05,0xfe,0x03,0xc8,0x42,0x00,0x00]

v_dot2_bf16_bf16 v2, v0, 1.0, v2
// CHECK: v_dot2_bf16_bf16 v2, v0, 1.0, v2        ; encoding: [0x02,0x00,0x67,0xd6,0x00,0xe5,0x09,0x04]

v_dot2_bf16_bf16 v2, 1.0, v0, v2
// CHECK: v_dot2_bf16_bf16 v2, 1.0, v0, v2        ; encoding: [0x02,0x00,0x67,0xd6,0xf2,0x00,0x0a,0x04]

v_dot2_bf16_bf16 v5, v1, v2, 1.0
// CHECK: v_dot2_bf16_bf16 v5, v1, v2, 1.0        ; encoding: [0x05,0x00,0x67,0xd6,0x01,0x05,0xca,0x03]

v_dot2_bf16_bf16 v2, v0, -1.0, v2
// CHECK: v_dot2_bf16_bf16 v2, v0, -1.0, v2       ; encoding: [0x02,0x00,0x67,0xd6,0x00,0xe7,0x09,0x04]

v_dot2_bf16_bf16 v2, v0, 0.5, v2
// CHECK: v_dot2_bf16_bf16 v2, v0, 0.5, v2        ; encoding: [0x02,0x00,0x67,0xd6,0x00,0xe1,0x09,0x04]

v_dot2_bf16_bf16 v2, v0, -0.5, v2
// CHECK: v_dot2_bf16_bf16 v2, v0, -0.5, v2       ; encoding: [0x02,0x00,0x67,0xd6,0x00,0xe3,0x09,0x04]

v_dot2_bf16_bf16 v2, v0, 2.0, v2
// CHECK: v_dot2_bf16_bf16 v2, v0, 2.0, v2        ; encoding: [0x02,0x00,0x67,0xd6,0x00,0xe9,0x09,0x04]
	;; [unrolled: 6-line block ×3, first 2 shown]

v_dot2_bf16_bf16 v2, v0, -4.0, v2
// CHECK: v_dot2_bf16_bf16 v2, v0, -4.0, v2       ; encoding: [0x02,0x00,0x67,0xd6,0x00,0xef,0x09,0x04]

// Check 1/(2*pi) rounded value and ideomatic fp32 0.15915494 value
// which cannot be accurately represented in bf16.

v_dot2_bf16_bf16 v2, v0, 0.158203125, v2
// CHECK: v_dot2_bf16_bf16 v2, v0, 0.15915494, v2 ; encoding: [0x02,0x00,0x67,0xd6,0x00,0xf1,0x09,0x04]

v_dot2_bf16_bf16 v2, v0, 0.15915494, v2
// CHECK: v_dot2_bf16_bf16 v2, v0, 0.15915494, v2 ; encoding: [0x02,0x00,0x67,0xd6,0x00,0xf1,0x09,0x04]

v_dot2_bf16_bf16 v2, v0, 0x3e22, v2
// CHECK: v_dot2_bf16_bf16 v2, v0, 0.15915494, v2 ; encoding: [0x02,0x00,0x67,0xd6,0x00,0xf1,0x09,0x04]

v_dot2_bf16_bf16 v2, v0, v2, 0.15915494
// CHECK: v_dot2_bf16_bf16 v2, v0, v2, 0.15915494 ; encoding: [0x02,0x00,0x67,0xd6,0x00,0x05,0xe2,0x03]

v_dot2_f32_bf16 v2, v1, 0, v2
// CHECK: v_dot2_f32_bf16 v2, v1, 0, v2           ; encoding: [0x02,0x40,0x1a,0xcc,0x01,0x01,0x09,0x1c]

v_dot2_f32_bf16 v2, v1, 0.5, v2
// CHECK: v_dot2_f32_bf16 v2, v1, 0.5, v2         ; encoding: [0x02,0x40,0x1a,0xcc,0x01,0xe1,0x09,0x1c]

v_dot2_f32_bf16 v2, v1, -0.5, v2
// CHECK: v_dot2_f32_bf16 v2, v1, -0.5, v2        ; encoding: [0x02,0x40,0x1a,0xcc,0x01,0xe3,0x09,0x1c]

v_dot2_f32_bf16 v2, v1, 1.0, v2
// CHECK: v_dot2_f32_bf16 v2, v1, 1.0, v2         ; encoding: [0x02,0x40,0x1a,0xcc,0x01,0xe5,0x09,0x1c]

v_dot2_f32_bf16 v2, v1, -1.0, v2
// CHECK: v_dot2_f32_bf16 v2, v1, -1.0, v2        ; encoding: [0x02,0x40,0x1a,0xcc,0x01,0xe7,0x09,0x1c]
	;; [unrolled: 6-line block ×4, first 2 shown]

v_dot2_f32_bf16 v2, v1, 0.15915494, v2
// CHECK: v_dot2_f32_bf16 v2, v1, 0.15915494, v2  ; encoding: [0x02,0x40,0x1a,0xcc,0x01,0xf1,0x09,0x1c]

v_dot2_f32_bf16 v2, v1, 0x3e22, v2
// CHECK: v_dot2_f32_bf16 v2, v1, 0.15915494, v2  ; encoding: [0x02,0x40,0x1a,0xcc,0x01,0xf1,0x09,0x1c]

v_dot2_f32_bf16 v2, 0.5, v1, v2
// CHECK: v_dot2_f32_bf16 v2, 0.5, v1, v2         ; encoding: [0x02,0x40,0x1a,0xcc,0xf0,0x02,0x0a,0x1c]

v_dot2_f32_bf16 v2, -0.5, v1, v2
// CHECK: v_dot2_f32_bf16 v2, -0.5, v1, v2        ; encoding: [0x02,0x40,0x1a,0xcc,0xf1,0x02,0x0a,0x1c]

v_dot2_f32_bf16 v2, 1.0, v1, v2
// CHECK: v_dot2_f32_bf16 v2, 1.0, v1, v2         ; encoding: [0x02,0x40,0x1a,0xcc,0xf2,0x02,0x0a,0x1c]

v_dot2_f32_bf16 v2, -1.0, v1, v2
// CHECK: v_dot2_f32_bf16 v2, -1.0, v1, v2        ; encoding: [0x02,0x40,0x1a,0xcc,0xf3,0x02,0x0a,0x1c]
	;; [unrolled: 6-line block ×4, first 2 shown]

v_dot2_f32_bf16 v2, 100.0, v1, v2
// CHECK: v_dot2_f32_bf16 v2, 0x42c8, v1, v2      ; encoding: [0x02,0x40,0x1a,0xcc,0xff,0x02,0x0a,0x1c,0xc8,0x42,0x00,0x00]

v_dot2_f32_bf16 v2, v1, 100.0, v2
// CHECK: v_dot2_f32_bf16 v2, v1, 0x42c8, v2      ; encoding: [0x02,0x40,0x1a,0xcc,0x01,0xff,0x09,0x1c,0xc8,0x42,0x00,0x00]
